;; amdgpu-corpus repo=ROCm/rocFFT kind=compiled arch=gfx1030 opt=O3
	.text
	.amdgcn_target "amdgcn-amd-amdhsa--gfx1030"
	.amdhsa_code_object_version 6
	.protected	fft_rtc_fwd_len52_factors_13_4_wgs_64_tpt_4_halfLds_dp_op_CI_CI_unitstride_sbrr_R2C_dirReg ; -- Begin function fft_rtc_fwd_len52_factors_13_4_wgs_64_tpt_4_halfLds_dp_op_CI_CI_unitstride_sbrr_R2C_dirReg
	.globl	fft_rtc_fwd_len52_factors_13_4_wgs_64_tpt_4_halfLds_dp_op_CI_CI_unitstride_sbrr_R2C_dirReg
	.p2align	8
	.type	fft_rtc_fwd_len52_factors_13_4_wgs_64_tpt_4_halfLds_dp_op_CI_CI_unitstride_sbrr_R2C_dirReg,@function
fft_rtc_fwd_len52_factors_13_4_wgs_64_tpt_4_halfLds_dp_op_CI_CI_unitstride_sbrr_R2C_dirReg: ; @fft_rtc_fwd_len52_factors_13_4_wgs_64_tpt_4_halfLds_dp_op_CI_CI_unitstride_sbrr_R2C_dirReg
; %bb.0:
	s_clause 0x2
	s_load_dwordx4 s[12:15], s[4:5], 0x0
	s_load_dwordx4 s[8:11], s[4:5], 0x58
	;; [unrolled: 1-line block ×3, first 2 shown]
	v_lshrrev_b32_e32 v7, 2, v0
	v_mov_b32_e32 v3, 0
	v_mov_b32_e32 v1, 0
	;; [unrolled: 1-line block ×3, first 2 shown]
	v_lshl_or_b32 v5, s6, 4, v7
	v_mov_b32_e32 v6, v3
	s_waitcnt lgkmcnt(0)
	v_cmp_lt_u64_e64 s0, s[14:15], 2
	s_and_b32 vcc_lo, exec_lo, s0
	s_cbranch_vccnz .LBB0_8
; %bb.1:
	s_load_dwordx2 s[0:1], s[4:5], 0x10
	v_mov_b32_e32 v1, 0
	v_mov_b32_e32 v2, 0
	s_add_u32 s2, s18, 8
	s_addc_u32 s3, s19, 0
	s_add_u32 s6, s16, 8
	s_addc_u32 s7, s17, 0
	v_mov_b32_e32 v65, v2
	v_mov_b32_e32 v64, v1
	s_mov_b64 s[22:23], 1
	s_waitcnt lgkmcnt(0)
	s_add_u32 s20, s0, 8
	s_addc_u32 s21, s1, 0
.LBB0_2:                                ; =>This Inner Loop Header: Depth=1
	s_load_dwordx2 s[24:25], s[20:21], 0x0
                                        ; implicit-def: $vgpr68_vgpr69
	s_mov_b32 s0, exec_lo
	s_waitcnt lgkmcnt(0)
	v_or_b32_e32 v4, s25, v6
	v_cmpx_ne_u64_e32 0, v[3:4]
	s_xor_b32 s1, exec_lo, s0
	s_cbranch_execz .LBB0_4
; %bb.3:                                ;   in Loop: Header=BB0_2 Depth=1
	v_cvt_f32_u32_e32 v4, s24
	v_cvt_f32_u32_e32 v8, s25
	s_sub_u32 s0, 0, s24
	s_subb_u32 s26, 0, s25
	v_fmac_f32_e32 v4, 0x4f800000, v8
	v_rcp_f32_e32 v4, v4
	v_mul_f32_e32 v4, 0x5f7ffffc, v4
	v_mul_f32_e32 v8, 0x2f800000, v4
	v_trunc_f32_e32 v8, v8
	v_fmac_f32_e32 v4, 0xcf800000, v8
	v_cvt_u32_f32_e32 v8, v8
	v_cvt_u32_f32_e32 v4, v4
	v_mul_lo_u32 v9, s0, v8
	v_mul_hi_u32 v10, s0, v4
	v_mul_lo_u32 v11, s26, v4
	v_add_nc_u32_e32 v9, v10, v9
	v_mul_lo_u32 v10, s0, v4
	v_add_nc_u32_e32 v9, v9, v11
	v_mul_hi_u32 v11, v4, v10
	v_mul_lo_u32 v12, v4, v9
	v_mul_hi_u32 v13, v4, v9
	v_mul_hi_u32 v14, v8, v10
	v_mul_lo_u32 v10, v8, v10
	v_mul_hi_u32 v15, v8, v9
	v_mul_lo_u32 v9, v8, v9
	v_add_co_u32 v11, vcc_lo, v11, v12
	v_add_co_ci_u32_e32 v12, vcc_lo, 0, v13, vcc_lo
	v_add_co_u32 v10, vcc_lo, v11, v10
	v_add_co_ci_u32_e32 v10, vcc_lo, v12, v14, vcc_lo
	v_add_co_ci_u32_e32 v11, vcc_lo, 0, v15, vcc_lo
	v_add_co_u32 v9, vcc_lo, v10, v9
	v_add_co_ci_u32_e32 v10, vcc_lo, 0, v11, vcc_lo
	v_add_co_u32 v4, vcc_lo, v4, v9
	v_add_co_ci_u32_e32 v8, vcc_lo, v8, v10, vcc_lo
	v_mul_hi_u32 v9, s0, v4
	v_mul_lo_u32 v11, s26, v4
	v_mul_lo_u32 v10, s0, v8
	v_add_nc_u32_e32 v9, v9, v10
	v_mul_lo_u32 v10, s0, v4
	v_add_nc_u32_e32 v9, v9, v11
	v_mul_hi_u32 v11, v4, v10
	v_mul_lo_u32 v12, v4, v9
	v_mul_hi_u32 v13, v4, v9
	v_mul_hi_u32 v14, v8, v10
	v_mul_lo_u32 v10, v8, v10
	v_mul_hi_u32 v15, v8, v9
	v_mul_lo_u32 v9, v8, v9
	v_add_co_u32 v11, vcc_lo, v11, v12
	v_add_co_ci_u32_e32 v12, vcc_lo, 0, v13, vcc_lo
	v_add_co_u32 v10, vcc_lo, v11, v10
	v_add_co_ci_u32_e32 v10, vcc_lo, v12, v14, vcc_lo
	v_add_co_ci_u32_e32 v11, vcc_lo, 0, v15, vcc_lo
	v_add_co_u32 v9, vcc_lo, v10, v9
	v_add_co_ci_u32_e32 v10, vcc_lo, 0, v11, vcc_lo
	v_add_co_u32 v4, vcc_lo, v4, v9
	v_add_co_ci_u32_e32 v12, vcc_lo, v8, v10, vcc_lo
	v_mul_hi_u32 v14, v5, v4
	v_mad_u64_u32 v[10:11], null, v6, v4, 0
	v_mad_u64_u32 v[8:9], null, v5, v12, 0
	;; [unrolled: 1-line block ×3, first 2 shown]
	v_add_co_u32 v4, vcc_lo, v14, v8
	v_add_co_ci_u32_e32 v8, vcc_lo, 0, v9, vcc_lo
	v_add_co_u32 v4, vcc_lo, v4, v10
	v_add_co_ci_u32_e32 v4, vcc_lo, v8, v11, vcc_lo
	v_add_co_ci_u32_e32 v8, vcc_lo, 0, v13, vcc_lo
	v_add_co_u32 v4, vcc_lo, v4, v12
	v_add_co_ci_u32_e32 v10, vcc_lo, 0, v8, vcc_lo
	v_mul_lo_u32 v11, s25, v4
	v_mad_u64_u32 v[8:9], null, s24, v4, 0
	v_mul_lo_u32 v12, s24, v10
	v_sub_co_u32 v8, vcc_lo, v5, v8
	v_add3_u32 v9, v9, v12, v11
	v_sub_nc_u32_e32 v11, v6, v9
	v_subrev_co_ci_u32_e64 v11, s0, s25, v11, vcc_lo
	v_add_co_u32 v12, s0, v4, 2
	v_add_co_ci_u32_e64 v13, s0, 0, v10, s0
	v_sub_co_u32 v14, s0, v8, s24
	v_sub_co_ci_u32_e32 v9, vcc_lo, v6, v9, vcc_lo
	v_subrev_co_ci_u32_e64 v11, s0, 0, v11, s0
	v_cmp_le_u32_e32 vcc_lo, s24, v14
	v_cmp_eq_u32_e64 s0, s25, v9
	v_cndmask_b32_e64 v14, 0, -1, vcc_lo
	v_cmp_le_u32_e32 vcc_lo, s25, v11
	v_cndmask_b32_e64 v15, 0, -1, vcc_lo
	v_cmp_le_u32_e32 vcc_lo, s24, v8
	;; [unrolled: 2-line block ×3, first 2 shown]
	v_cndmask_b32_e64 v16, 0, -1, vcc_lo
	v_cmp_eq_u32_e32 vcc_lo, s25, v11
	v_cndmask_b32_e64 v8, v16, v8, s0
	v_cndmask_b32_e32 v11, v15, v14, vcc_lo
	v_add_co_u32 v14, vcc_lo, v4, 1
	v_add_co_ci_u32_e32 v15, vcc_lo, 0, v10, vcc_lo
	v_cmp_ne_u32_e32 vcc_lo, 0, v11
	v_cndmask_b32_e32 v9, v15, v13, vcc_lo
	v_cndmask_b32_e32 v11, v14, v12, vcc_lo
	v_cmp_ne_u32_e32 vcc_lo, 0, v8
	v_cndmask_b32_e32 v69, v10, v9, vcc_lo
	v_cndmask_b32_e32 v68, v4, v11, vcc_lo
.LBB0_4:                                ;   in Loop: Header=BB0_2 Depth=1
	s_andn2_saveexec_b32 s0, s1
	s_cbranch_execz .LBB0_6
; %bb.5:                                ;   in Loop: Header=BB0_2 Depth=1
	v_cvt_f32_u32_e32 v4, s24
	s_sub_i32 s1, 0, s24
	v_mov_b32_e32 v69, v3
	v_rcp_iflag_f32_e32 v4, v4
	v_mul_f32_e32 v4, 0x4f7ffffe, v4
	v_cvt_u32_f32_e32 v4, v4
	v_mul_lo_u32 v8, s1, v4
	v_mul_hi_u32 v8, v4, v8
	v_add_nc_u32_e32 v4, v4, v8
	v_mul_hi_u32 v4, v5, v4
	v_mul_lo_u32 v8, v4, s24
	v_add_nc_u32_e32 v9, 1, v4
	v_sub_nc_u32_e32 v8, v5, v8
	v_subrev_nc_u32_e32 v10, s24, v8
	v_cmp_le_u32_e32 vcc_lo, s24, v8
	v_cndmask_b32_e32 v8, v8, v10, vcc_lo
	v_cndmask_b32_e32 v4, v4, v9, vcc_lo
	v_cmp_le_u32_e32 vcc_lo, s24, v8
	v_add_nc_u32_e32 v9, 1, v4
	v_cndmask_b32_e32 v68, v4, v9, vcc_lo
.LBB0_6:                                ;   in Loop: Header=BB0_2 Depth=1
	s_or_b32 exec_lo, exec_lo, s0
	v_mul_lo_u32 v4, v69, s24
	v_mul_lo_u32 v10, v68, s25
	s_load_dwordx2 s[0:1], s[6:7], 0x0
	v_mad_u64_u32 v[8:9], null, v68, s24, 0
	s_load_dwordx2 s[24:25], s[2:3], 0x0
	s_add_u32 s22, s22, 1
	s_addc_u32 s23, s23, 0
	s_add_u32 s2, s2, 8
	s_addc_u32 s3, s3, 0
	s_add_u32 s6, s6, 8
	v_add3_u32 v4, v9, v10, v4
	v_sub_co_u32 v5, vcc_lo, v5, v8
	s_addc_u32 s7, s7, 0
	s_add_u32 s20, s20, 8
	v_sub_co_ci_u32_e32 v4, vcc_lo, v6, v4, vcc_lo
	s_addc_u32 s21, s21, 0
	s_waitcnt lgkmcnt(0)
	v_mul_lo_u32 v6, s0, v4
	v_mul_lo_u32 v8, s1, v5
	v_mad_u64_u32 v[1:2], null, s0, v5, v[1:2]
	v_mul_lo_u32 v4, s24, v4
	v_mul_lo_u32 v9, s25, v5
	v_mad_u64_u32 v[64:65], null, s24, v5, v[64:65]
	v_cmp_ge_u64_e64 s0, s[22:23], s[14:15]
	v_add3_u32 v2, v8, v2, v6
	v_add3_u32 v65, v9, v65, v4
	s_and_b32 vcc_lo, exec_lo, s0
	s_cbranch_vccnz .LBB0_9
; %bb.7:                                ;   in Loop: Header=BB0_2 Depth=1
	v_mov_b32_e32 v5, v68
	v_mov_b32_e32 v6, v69
	s_branch .LBB0_2
.LBB0_8:
	v_mov_b32_e32 v65, v2
	v_mov_b32_e32 v69, v6
	;; [unrolled: 1-line block ×4, first 2 shown]
.LBB0_9:
	s_load_dwordx2 s[0:1], s[4:5], 0x28
	s_lshl_b64 s[4:5], s[14:15], 3
	v_and_b32_e32 v66, 3, v0
	s_add_u32 s2, s18, s4
	s_addc_u32 s3, s19, s5
                                        ; implicit-def: $vgpr71
                                        ; implicit-def: $vgpr70
	s_waitcnt lgkmcnt(0)
	v_cmp_gt_u64_e32 vcc_lo, s[0:1], v[68:69]
	v_cmp_le_u64_e64 s0, s[0:1], v[68:69]
	s_and_saveexec_b32 s1, s0
	s_xor_b32 s0, exec_lo, s1
; %bb.10:
	v_and_b32_e32 v66, 3, v0
                                        ; implicit-def: $vgpr1_vgpr2
	v_or_b32_e32 v71, 4, v66
	v_or_b32_e32 v70, 8, v66
; %bb.11:
	s_or_saveexec_b32 s1, s0
	v_mul_u32_u24_e32 v0, 53, v7
	v_lshlrev_b32_e32 v0, 4, v0
	s_xor_b32 exec_lo, exec_lo, s1
	s_cbranch_execz .LBB0_13
; %bb.12:
	s_add_u32 s4, s16, s4
	s_addc_u32 s5, s17, s5
	v_lshlrev_b64 v[1:2], 4, v[1:2]
	s_load_dwordx2 s[4:5], s[4:5], 0x0
	v_lshlrev_b32_e32 v53, 4, v66
	v_or_b32_e32 v71, 4, v66
	v_or_b32_e32 v70, 8, v66
	s_waitcnt lgkmcnt(0)
	v_mul_lo_u32 v5, s5, v68
	v_mul_lo_u32 v6, s4, v69
	v_mad_u64_u32 v[3:4], null, s4, v68, 0
	v_add3_u32 v4, v4, v6, v5
	v_lshlrev_b64 v[3:4], 4, v[3:4]
	v_add_co_u32 v3, s0, s8, v3
	v_add_co_ci_u32_e64 v4, s0, s9, v4, s0
	v_add_co_u32 v1, s0, v3, v1
	v_add_co_ci_u32_e64 v2, s0, v4, v2, s0
	;; [unrolled: 2-line block ×3, first 2 shown]
	v_add3_u32 v53, 0, v0, v53
	s_clause 0xc
	global_load_dwordx4 v[1:4], v[49:50], off
	global_load_dwordx4 v[5:8], v[49:50], off offset:64
	global_load_dwordx4 v[9:12], v[49:50], off offset:128
	;; [unrolled: 1-line block ×12, first 2 shown]
	s_waitcnt vmcnt(12)
	ds_write_b128 v53, v[1:4]
	s_waitcnt vmcnt(11)
	ds_write_b128 v53, v[5:8] offset:64
	s_waitcnt vmcnt(10)
	ds_write_b128 v53, v[9:12] offset:128
	s_waitcnt vmcnt(9)
	ds_write_b128 v53, v[13:16] offset:192
	s_waitcnt vmcnt(8)
	ds_write_b128 v53, v[17:20] offset:256
	s_waitcnt vmcnt(7)
	ds_write_b128 v53, v[21:24] offset:320
	s_waitcnt vmcnt(6)
	ds_write_b128 v53, v[25:28] offset:384
	s_waitcnt vmcnt(5)
	ds_write_b128 v53, v[29:32] offset:448
	s_waitcnt vmcnt(4)
	ds_write_b128 v53, v[33:36] offset:512
	s_waitcnt vmcnt(3)
	ds_write_b128 v53, v[37:40] offset:576
	s_waitcnt vmcnt(2)
	ds_write_b128 v53, v[41:44] offset:640
	s_waitcnt vmcnt(1)
	ds_write_b128 v53, v[45:48] offset:704
	s_waitcnt vmcnt(0)
	ds_write_b128 v53, v[49:52] offset:768
.LBB0_13:
	s_or_b32 exec_lo, exec_lo, s1
	v_add_nc_u32_e32 v74, 0, v0
	v_lshlrev_b32_e32 v67, 4, v66
	s_load_dwordx2 s[4:5], s[2:3], 0x0
	s_waitcnt lgkmcnt(0)
	s_barrier
	buffer_gl0_inv
	v_add_nc_u32_e32 v75, v74, v67
	v_add3_u32 v76, 0, v67, v0
	s_mov_b32 s3, 0xbfddbe06
	s_mov_b32 s2, 0x4267c47c
	ds_read_b128 v[0:3], v75
	ds_read_b128 v[8:11], v76 offset:64
	ds_read_b128 v[20:23], v76 offset:128
	;; [unrolled: 1-line block ×3, first 2 shown]
	s_mov_b32 s18, 0x42a4c3d2
	s_mov_b32 s0, 0xe00740e9
	;; [unrolled: 1-line block ×18, first 2 shown]
	s_waitcnt lgkmcnt(2)
	v_add_f64 v[4:5], v[0:1], v[8:9]
	v_add_f64 v[6:7], v[2:3], v[10:11]
	s_mov_b32 s29, 0xbfcea1e5
	s_mov_b32 s21, 0xbfe7f3cc
	;; [unrolled: 1-line block ×8, first 2 shown]
	s_waitcnt lgkmcnt(1)
	v_add_f64 v[4:5], v[4:5], v[20:21]
	v_add_f64 v[6:7], v[6:7], v[22:23]
	s_waitcnt lgkmcnt(0)
	v_add_f64 v[24:25], v[4:5], v[16:17]
	v_add_f64 v[26:27], v[6:7], v[18:19]
	ds_read_b128 v[12:15], v76 offset:256
	ds_read_b128 v[4:7], v76 offset:320
	;; [unrolled: 1-line block ×9, first 2 shown]
	s_waitcnt lgkmcnt(0)
	s_barrier
	buffer_gl0_inv
	v_add_f64 v[24:25], v[24:25], v[12:13]
	v_add_f64 v[26:27], v[26:27], v[14:15]
	v_add_f64 v[72:73], v[10:11], -v[79:80]
	v_add_f64 v[89:90], v[8:9], -v[77:78]
	;; [unrolled: 1-line block ×4, first 2 shown]
	v_add_f64 v[91:92], v[8:9], v[77:78]
	v_add_f64 v[95:96], v[10:11], v[79:80]
	v_add_f64 v[10:11], v[18:19], -v[87:88]
	v_add_f64 v[8:9], v[16:17], -v[85:86]
	;; [unrolled: 1-line block ×3, first 2 shown]
	v_add_f64 v[24:25], v[24:25], v[4:5]
	v_add_f64 v[26:27], v[26:27], v[6:7]
	v_mul_f64 v[93:94], v[72:73], s[2:3]
	v_mul_f64 v[97:98], v[89:90], s[2:3]
	v_mul_f64 v[32:33], v[46:47], s[18:19]
	v_mul_f64 v[40:41], v[44:45], s[18:19]
	v_mul_f64 v[113:114], v[89:90], s[18:19]
	v_mul_f64 v[117:118], v[89:90], s[8:9]
	v_mul_f64 v[119:120], v[89:90], s[22:23]
	v_mul_f64 v[121:122], v[46:47], s[8:9]
	v_mul_f64 v[123:124], v[44:45], s[8:9]
	v_mul_f64 v[125:126], v[46:47], s[28:29]
	v_mul_f64 v[127:128], v[44:45], s[28:29]
	s_mov_b32 s3, 0x3fddbe06
	v_add_f64 v[24:25], v[24:25], v[52:53]
	v_add_f64 v[26:27], v[26:27], v[54:55]
	v_fma_f64 v[34:35], v[91:92], s[0:1], -v[93:94]
	v_fma_f64 v[36:37], v[95:96], s[0:1], v[97:98]
	v_fma_f64 v[97:98], v[95:96], s[0:1], -v[97:98]
	v_fma_f64 v[139:140], v[95:96], s[6:7], v[113:114]
	v_fma_f64 v[113:114], v[95:96], s[6:7], -v[113:114]
	v_add_f64 v[28:29], v[24:25], v[60:61]
	v_add_f64 v[26:27], v[26:27], v[62:63]
	;; [unrolled: 1-line block ×4, first 2 shown]
	v_add_f64 v[22:23], v[12:13], -v[56:57]
	v_add_f64 v[101:102], v[0:1], v[34:35]
	v_add_f64 v[105:106], v[2:3], v[36:37]
	v_add_f64 v[36:37], v[4:5], -v[48:49]
	v_add_f64 v[34:35], v[12:13], v[56:57]
	v_add_f64 v[12:13], v[14:15], v[58:59]
	;; [unrolled: 1-line block ×3, first 2 shown]
	v_add_f64 v[52:53], v[52:53], -v[60:61]
	v_add_f64 v[97:98], v[2:3], v[97:98]
	v_add_f64 v[113:114], v[2:3], v[113:114]
	;; [unrolled: 1-line block ×6, first 2 shown]
	v_mul_f64 v[28:29], v[10:11], s[26:27]
	v_mul_f64 v[18:19], v[8:9], s[26:27]
	v_fma_f64 v[99:100], v[24:25], s[6:7], -v[32:33]
	v_fma_f64 v[103:104], v[20:21], s[6:7], v[40:41]
	v_add_f64 v[48:49], v[4:5], v[48:49]
	v_mul_f64 v[4:5], v[72:73], s[18:19]
	v_mul_f64 v[129:130], v[52:53], s[28:29]
	v_add_f64 v[107:108], v[38:39], v[56:57]
	v_add_f64 v[109:110], v[42:43], v[58:59]
	v_add_f64 v[38:39], v[6:7], -v[50:51]
	v_mul_f64 v[56:57], v[30:31], s[8:9]
	v_mul_f64 v[58:59], v[22:23], s[8:9]
	v_fma_f64 v[111:112], v[26:27], s[14:15], -v[28:29]
	v_add_f64 v[99:100], v[99:100], v[101:102]
	v_fma_f64 v[101:102], v[16:17], s[14:15], v[18:19]
	v_add_f64 v[103:104], v[103:104], v[105:106]
	v_add_f64 v[50:51], v[6:7], v[50:51]
	;; [unrolled: 1-line block ×3, first 2 shown]
	v_add_f64 v[54:55], v[54:55], -v[62:63]
	v_mul_f64 v[62:63], v[36:37], s[22:23]
	v_mul_f64 v[6:7], v[72:73], s[26:27]
	;; [unrolled: 1-line block ×3, first 2 shown]
	v_add_f64 v[85:86], v[107:108], v[85:86]
	v_add_f64 v[87:88], v[109:110], v[87:88]
	v_mul_f64 v[60:61], v[38:39], s[22:23]
	v_fma_f64 v[115:116], v[34:35], s[16:17], -v[56:57]
	v_mul_f64 v[107:108], v[72:73], s[22:23]
	v_mul_f64 v[109:110], v[72:73], s[28:29]
	v_add_f64 v[99:100], v[111:112], v[99:100]
	v_fma_f64 v[111:112], v[12:13], s[16:17], v[58:59]
	v_add_f64 v[101:102], v[101:102], v[103:104]
	v_mul_f64 v[103:104], v[89:90], s[26:27]
	v_mul_f64 v[89:90], v[89:90], s[28:29]
	;; [unrolled: 1-line block ×3, first 2 shown]
	v_fma_f64 v[131:132], v[91:92], s[14:15], -v[6:7]
	v_fma_f64 v[133:134], v[91:92], s[14:15], v[6:7]
	v_fma_f64 v[135:136], v[91:92], s[16:17], -v[105:106]
	v_fma_f64 v[105:106], v[91:92], s[16:17], v[105:106]
	v_add_f64 v[81:82], v[85:86], v[81:82]
	v_add_f64 v[83:84], v[87:88], v[83:84]
	v_fma_f64 v[87:88], v[91:92], s[6:7], -v[4:5]
	v_fma_f64 v[137:138], v[48:49], s[20:21], -v[60:61]
	v_fma_f64 v[85:86], v[91:92], s[0:1], v[93:94]
	v_fma_f64 v[93:94], v[91:92], s[6:7], v[4:5]
	v_add_f64 v[99:100], v[115:116], v[99:100]
	v_fma_f64 v[115:116], v[50:51], s[20:21], v[62:63]
	v_add_f64 v[101:102], v[111:112], v[101:102]
	v_fma_f64 v[111:112], v[91:92], s[20:21], -v[107:108]
	v_fma_f64 v[107:108], v[91:92], s[20:21], v[107:108]
	v_fma_f64 v[141:142], v[91:92], s[24:25], -v[109:110]
	v_fma_f64 v[91:92], v[91:92], s[24:25], v[109:110]
	v_fma_f64 v[109:110], v[95:96], s[14:15], v[103:104]
	v_fma_f64 v[103:104], v[95:96], s[14:15], -v[103:104]
	v_add_f64 v[131:132], v[0:1], v[131:132]
	v_add_f64 v[133:134], v[0:1], v[133:134]
	;; [unrolled: 1-line block ×6, first 2 shown]
	v_fma_f64 v[77:78], v[95:96], s[16:17], v[117:118]
	v_fma_f64 v[79:80], v[95:96], s[16:17], -v[117:118]
	v_fma_f64 v[81:82], v[95:96], s[20:21], v[119:120]
	v_fma_f64 v[83:84], v[95:96], s[20:21], -v[119:120]
	;; [unrolled: 2-line block ×3, first 2 shown]
	v_fma_f64 v[95:96], v[24:25], s[16:17], -v[121:122]
	v_add_f64 v[99:100], v[137:138], v[99:100]
	v_fma_f64 v[119:120], v[14:15], s[24:25], -v[72:73]
	v_add_f64 v[101:102], v[115:116], v[101:102]
	v_fma_f64 v[115:116], v[42:43], s[24:25], v[129:130]
	v_add_f64 v[87:88], v[0:1], v[87:88]
	v_add_f64 v[85:86], v[0:1], v[85:86]
	;; [unrolled: 1-line block ×10, first 2 shown]
	v_mul_f64 v[91:92], v[10:11], s[28:29]
	v_add_f64 v[139:140], v[2:3], v[77:78]
	v_add_f64 v[143:144], v[2:3], v[79:80]
	;; [unrolled: 1-line block ×6, first 2 shown]
	v_fma_f64 v[89:90], v[20:21], s[16:17], v[123:124]
	v_fma_f64 v[121:122], v[24:25], s[16:17], v[121:122]
	v_fma_f64 v[123:124], v[20:21], s[16:17], -v[123:124]
	v_add_f64 v[77:78], v[119:120], v[99:100]
	v_add_f64 v[79:80], v[115:116], v[101:102]
	v_fma_f64 v[99:100], v[24:25], s[24:25], -v[125:126]
	v_mul_f64 v[101:102], v[8:9], s[28:29]
	v_add_f64 v[87:88], v[95:96], v[87:88]
	v_fma_f64 v[95:96], v[20:21], s[24:25], v[127:128]
	v_fma_f64 v[115:116], v[24:25], s[24:25], v[125:126]
	v_mul_f64 v[119:120], v[10:11], s[30:31]
	v_fma_f64 v[125:126], v[20:21], s[24:25], -v[127:128]
	s_mov_b32 s29, 0x3fcea1e5
	v_fma_f64 v[72:73], v[14:15], s[24:25], v[72:73]
	v_add_f64 v[89:90], v[89:90], v[137:138]
	v_add_f64 v[93:94], v[121:122], v[93:94]
	v_mul_f64 v[121:122], v[8:9], s[30:31]
	v_add_f64 v[113:114], v[123:124], v[113:114]
	v_fma_f64 v[123:124], v[26:27], s[24:25], -v[91:92]
	v_add_f64 v[99:100], v[99:100], v[131:132]
	v_fma_f64 v[127:128], v[16:17], s[24:25], v[101:102]
	v_fma_f64 v[91:92], v[26:27], s[24:25], v[91:92]
	v_fma_f64 v[101:102], v[16:17], s[24:25], -v[101:102]
	v_add_f64 v[95:96], v[95:96], v[109:110]
	v_mul_f64 v[109:110], v[30:31], s[34:35]
	v_fma_f64 v[131:132], v[26:27], s[16:17], -v[119:120]
	v_add_f64 v[103:104], v[125:126], v[103:104]
	v_mul_f64 v[125:126], v[22:23], s[34:35]
	v_add_f64 v[115:116], v[115:116], v[133:134]
	v_fma_f64 v[119:120], v[26:27], s[16:17], v[119:120]
	s_mov_b32 s31, 0x3fefc445
	s_mov_b32 s30, s26
	v_mul_f64 v[137:138], v[44:45], s[30:31]
	v_add_f64 v[87:88], v[123:124], v[87:88]
	v_fma_f64 v[123:124], v[16:17], s[16:17], v[121:122]
	v_add_f64 v[89:90], v[127:128], v[89:90]
	v_mul_f64 v[127:128], v[30:31], s[2:3]
	v_add_f64 v[91:92], v[91:92], v[93:94]
	v_mul_f64 v[93:94], v[22:23], s[2:3]
	v_fma_f64 v[121:122], v[16:17], s[16:17], -v[121:122]
	v_add_f64 v[101:102], v[101:102], v[113:114]
	v_fma_f64 v[113:114], v[34:35], s[20:21], -v[109:110]
	v_add_f64 v[99:100], v[131:132], v[99:100]
	v_fma_f64 v[131:132], v[12:13], s[20:21], v[125:126]
	v_fma_f64 v[109:110], v[34:35], s[20:21], v[109:110]
	v_fma_f64 v[125:126], v[12:13], s[20:21], -v[125:126]
	v_add_f64 v[115:116], v[119:120], v[115:116]
	v_add_f64 v[95:96], v[123:124], v[95:96]
	v_mul_f64 v[123:124], v[38:39], s[30:31]
	v_fma_f64 v[119:120], v[34:35], s[0:1], -v[127:128]
	v_fma_f64 v[127:128], v[34:35], s[0:1], v[127:128]
	v_add_f64 v[103:104], v[121:122], v[103:104]
	v_fma_f64 v[121:122], v[12:13], s[0:1], v[93:94]
	v_add_f64 v[87:88], v[113:114], v[87:88]
	v_mul_f64 v[113:114], v[36:37], s[30:31]
	v_fma_f64 v[93:94], v[12:13], s[0:1], -v[93:94]
	v_add_f64 v[89:90], v[131:132], v[89:90]
	v_mul_f64 v[131:132], v[38:39], s[18:19]
	v_add_f64 v[91:92], v[109:110], v[91:92]
	v_mul_f64 v[109:110], v[36:37], s[18:19]
	v_add_f64 v[101:102], v[125:126], v[101:102]
	v_mul_f64 v[125:126], v[46:47], s[34:35]
	v_add_f64 v[99:100], v[119:120], v[99:100]
	v_fma_f64 v[119:120], v[48:49], s[14:15], -v[123:124]
	v_fma_f64 v[123:124], v[48:49], s[14:15], v[123:124]
	v_add_f64 v[115:116], v[127:128], v[115:116]
	v_add_f64 v[95:96], v[121:122], v[95:96]
	v_mul_f64 v[127:128], v[44:45], s[34:35]
	v_fma_f64 v[121:122], v[50:51], s[14:15], v[113:114]
	v_fma_f64 v[113:114], v[50:51], s[14:15], -v[113:114]
	v_add_f64 v[93:94], v[93:94], v[103:104]
	v_fma_f64 v[103:104], v[48:49], s[6:7], -v[131:132]
	v_fma_f64 v[131:132], v[48:49], s[6:7], v[131:132]
	v_mul_f64 v[44:45], v[44:45], s[2:3]
	v_add_f64 v[87:88], v[119:120], v[87:88]
	v_mul_f64 v[119:120], v[10:11], s[2:3]
	v_add_f64 v[91:92], v[123:124], v[91:92]
	v_fma_f64 v[123:124], v[24:25], s[20:21], -v[125:126]
	v_fma_f64 v[125:126], v[24:25], s[20:21], v[125:126]
	v_add_f64 v[89:90], v[121:122], v[89:90]
	v_fma_f64 v[121:122], v[50:51], s[6:7], v[109:110]
	v_add_f64 v[101:102], v[113:114], v[101:102]
	;; [unrolled: 2-line block ×3, first 2 shown]
	v_mul_f64 v[103:104], v[8:9], s[2:3]
	v_fma_f64 v[109:110], v[50:51], s[6:7], -v[109:110]
	v_add_f64 v[115:116], v[131:132], v[115:116]
	v_mul_f64 v[131:132], v[22:23], s[26:27]
	v_fma_f64 v[127:128], v[20:21], s[20:21], -v[127:128]
	v_add_f64 v[105:106], v[125:126], v[105:106]
	v_mul_f64 v[125:126], v[36:37], s[28:29]
	v_add_f64 v[95:96], v[121:122], v[95:96]
	v_add_f64 v[121:122], v[123:124], v[135:136]
	;; [unrolled: 1-line block ×3, first 2 shown]
	v_fma_f64 v[123:124], v[26:27], s[0:1], -v[119:120]
	v_fma_f64 v[133:134], v[16:17], s[0:1], v[103:104]
	v_mul_f64 v[135:136], v[30:31], s[26:27]
	v_add_f64 v[93:94], v[109:110], v[93:94]
	v_fma_f64 v[119:120], v[26:27], s[0:1], v[119:120]
	v_add_f64 v[127:128], v[127:128], v[143:144]
	v_fma_f64 v[103:104], v[16:17], s[0:1], -v[103:104]
	v_add_f64 v[109:110], v[123:124], v[121:122]
	v_add_f64 v[113:114], v[133:134], v[113:114]
	v_fma_f64 v[121:122], v[34:35], s[14:15], -v[135:136]
	v_fma_f64 v[123:124], v[12:13], s[14:15], v[131:132]
	v_mul_f64 v[133:134], v[38:39], s[28:29]
	v_add_f64 v[105:106], v[119:120], v[105:106]
	v_fma_f64 v[119:120], v[34:35], s[14:15], v[135:136]
	v_mul_f64 v[135:136], v[46:47], s[30:31]
	v_add_f64 v[103:104], v[103:104], v[127:128]
	v_mul_f64 v[127:128], v[10:11], s[18:19]
	v_mul_f64 v[46:47], v[46:47], s[2:3]
	;; [unrolled: 1-line block ×3, first 2 shown]
	v_add_f64 v[109:110], v[121:122], v[109:110]
	v_add_f64 v[113:114], v[123:124], v[113:114]
	v_fma_f64 v[121:122], v[48:49], s[24:25], -v[133:134]
	v_fma_f64 v[123:124], v[50:51], s[24:25], v[125:126]
	v_add_f64 v[105:106], v[119:120], v[105:106]
	v_fma_f64 v[119:120], v[24:25], s[14:15], -v[135:136]
	v_fma_f64 v[125:126], v[50:51], s[24:25], -v[125:126]
	v_add_f64 v[109:110], v[121:122], v[109:110]
	v_add_f64 v[113:114], v[123:124], v[113:114]
	v_fma_f64 v[121:122], v[12:13], s[14:15], -v[131:132]
	v_fma_f64 v[123:124], v[20:21], s[14:15], v[137:138]
	v_mul_f64 v[131:132], v[8:9], s[18:19]
	v_add_f64 v[111:112], v[119:120], v[111:112]
	v_fma_f64 v[119:120], v[26:27], s[6:7], -v[127:128]
	v_mul_f64 v[8:9], v[8:9], s[22:23]
	s_mov_b32 s19, 0x3fea55e2
	v_fma_f64 v[127:128], v[26:27], s[6:7], v[127:128]
	v_add_f64 v[103:104], v[121:122], v[103:104]
	v_add_f64 v[81:82], v[123:124], v[81:82]
	v_fma_f64 v[121:122], v[16:17], s[6:7], v[131:132]
	v_mul_f64 v[123:124], v[30:31], s[28:29]
	v_add_f64 v[111:112], v[119:120], v[111:112]
	v_mul_f64 v[30:31], v[30:31], s[18:19]
	v_add_f64 v[81:82], v[121:122], v[81:82]
	v_fma_f64 v[119:120], v[34:35], s[24:25], -v[123:124]
	v_fma_f64 v[121:122], v[24:25], s[14:15], v[135:136]
	v_fma_f64 v[135:136], v[20:21], s[14:15], -v[137:138]
	v_fma_f64 v[137:138], v[24:25], s[0:1], -v[46:47]
	v_fma_f64 v[46:47], v[24:25], s[0:1], v[46:47]
	v_fma_f64 v[24:25], v[24:25], s[6:7], v[32:33]
	;; [unrolled: 1-line block ×3, first 2 shown]
	v_fma_f64 v[44:45], v[20:21], s[0:1], -v[44:45]
	v_fma_f64 v[20:21], v[20:21], s[6:7], -v[40:41]
	v_mul_f64 v[40:41], v[22:23], s[28:29]
	v_mul_f64 v[22:23], v[22:23], s[18:19]
	v_fma_f64 v[123:124], v[34:35], s[24:25], v[123:124]
	v_add_f64 v[111:112], v[119:120], v[111:112]
	v_add_f64 v[107:108], v[121:122], v[107:108]
	;; [unrolled: 1-line block ×5, first 2 shown]
	v_fma_f64 v[46:47], v[16:17], s[6:7], -v[131:132]
	v_add_f64 v[32:33], v[32:33], v[117:118]
	v_add_f64 v[2:3], v[44:45], v[2:3]
	v_fma_f64 v[44:45], v[26:27], s[20:21], -v[10:11]
	v_add_f64 v[24:25], v[24:25], v[85:86]
	v_fma_f64 v[85:86], v[16:17], s[20:21], v[8:9]
	v_fma_f64 v[10:11], v[26:27], s[20:21], v[10:11]
	v_fma_f64 v[8:9], v[16:17], s[20:21], -v[8:9]
	v_add_f64 v[20:21], v[20:21], v[97:98]
	v_fma_f64 v[26:27], v[26:27], s[14:15], v[28:29]
	v_fma_f64 v[16:17], v[16:17], s[14:15], -v[18:19]
	v_mul_f64 v[18:19], v[52:53], s[22:23]
	v_fma_f64 v[121:122], v[12:13], s[24:25], v[40:41]
	v_fma_f64 v[40:41], v[12:13], s[24:25], -v[40:41]
	v_mul_f64 v[135:136], v[54:55], s[2:3]
	v_mul_f64 v[137:138], v[52:53], s[2:3]
	;; [unrolled: 1-line block ×3, first 2 shown]
	v_add_f64 v[107:108], v[127:128], v[107:108]
	v_add_f64 v[46:47], v[46:47], v[83:84]
	v_mul_f64 v[83:84], v[54:55], s[18:19]
	v_add_f64 v[44:45], v[44:45], v[119:120]
	v_mul_f64 v[119:120], v[38:39], s[2:3]
	;; [unrolled: 2-line block ×3, first 2 shown]
	v_add_f64 v[0:1], v[10:11], v[0:1]
	v_fma_f64 v[10:11], v[34:35], s[6:7], -v[30:31]
	v_add_f64 v[2:3], v[8:9], v[2:3]
	v_fma_f64 v[8:9], v[12:13], s[6:7], v[22:23]
	v_fma_f64 v[30:31], v[34:35], s[6:7], v[30:31]
	v_mul_f64 v[38:39], v[38:39], s[8:9]
	v_fma_f64 v[22:23], v[12:13], s[6:7], -v[22:23]
	v_mul_f64 v[36:37], v[36:37], s[8:9]
	v_add_f64 v[24:25], v[26:27], v[24:25]
	v_add_f64 v[16:17], v[16:17], v[20:21]
	v_fma_f64 v[20:21], v[42:43], s[20:21], v[18:19]
	v_fma_f64 v[131:132], v[42:43], s[20:21], -v[18:19]
	v_fma_f64 v[18:19], v[34:35], s[16:17], v[56:57]
	v_fma_f64 v[12:13], v[12:13], s[16:17], -v[58:59]
	v_mul_f64 v[56:57], v[52:53], s[18:19]
	v_add_f64 v[81:82], v[121:122], v[81:82]
	v_add_f64 v[107:108], v[123:124], v[107:108]
	;; [unrolled: 1-line block ×3, first 2 shown]
	v_fma_f64 v[58:59], v[48:49], s[24:25], v[133:134]
	v_fma_f64 v[123:124], v[48:49], s[0:1], -v[119:120]
	v_fma_f64 v[119:120], v[48:49], s[0:1], v[119:120]
	v_fma_f64 v[46:47], v[50:51], s[0:1], v[85:86]
	v_fma_f64 v[85:86], v[50:51], s[0:1], -v[85:86]
	v_add_f64 v[10:11], v[10:11], v[44:45]
	v_mul_f64 v[44:45], v[54:55], s[8:9]
	v_add_f64 v[8:9], v[8:9], v[32:33]
	v_mul_f64 v[32:33], v[52:53], s[8:9]
	v_add_f64 v[0:1], v[30:31], v[0:1]
	v_fma_f64 v[30:31], v[48:49], s[16:17], -v[38:39]
	v_add_f64 v[2:3], v[22:23], v[2:3]
	v_fma_f64 v[22:23], v[50:51], s[16:17], v[36:37]
	v_mul_f64 v[54:55], v[54:55], s[30:31]
	v_mul_f64 v[52:53], v[52:53], s[30:31]
	v_fma_f64 v[38:39], v[48:49], s[16:17], v[38:39]
	v_fma_f64 v[36:37], v[50:51], s[16:17], -v[36:37]
	v_add_f64 v[18:19], v[18:19], v[24:25]
	v_add_f64 v[12:13], v[12:13], v[16:17]
	v_fma_f64 v[16:17], v[48:49], s[20:21], v[60:61]
	v_fma_f64 v[24:25], v[50:51], s[20:21], -v[62:63]
	v_fma_f64 v[97:98], v[14:15], s[0:1], -v[135:136]
	v_fma_f64 v[117:118], v[42:43], s[0:1], v[137:138]
	v_fma_f64 v[26:27], v[14:15], s[20:21], -v[28:29]
	v_fma_f64 v[34:35], v[14:15], s[6:7], -v[83:84]
	v_fma_f64 v[133:134], v[42:43], s[6:7], v[56:57]
	v_add_f64 v[60:61], v[123:124], v[111:112]
	v_add_f64 v[46:47], v[46:47], v[81:82]
	v_fma_f64 v[62:63], v[14:15], s[16:17], -v[44:45]
	v_add_f64 v[48:49], v[58:59], v[105:106]
	v_fma_f64 v[81:82], v[42:43], s[16:17], v[32:33]
	v_add_f64 v[50:51], v[125:126], v[103:104]
	v_fma_f64 v[58:59], v[14:15], s[6:7], v[83:84]
	v_add_f64 v[83:84], v[119:120], v[107:108]
	v_add_f64 v[85:86], v[85:86], v[40:41]
	v_fma_f64 v[40:41], v[14:15], s[16:17], v[44:45]
	v_add_f64 v[30:31], v[30:31], v[10:11]
	v_add_f64 v[22:23], v[22:23], v[8:9]
	v_fma_f64 v[44:45], v[14:15], s[14:15], -v[54:55]
	v_fma_f64 v[103:104], v[42:43], s[14:15], v[52:53]
	v_add_f64 v[0:1], v[38:39], v[0:1]
	v_add_f64 v[2:3], v[36:37], v[2:3]
	v_fma_f64 v[38:39], v[14:15], s[14:15], v[54:55]
	v_fma_f64 v[52:53], v[42:43], s[14:15], -v[52:53]
	v_fma_f64 v[54:55], v[42:43], s[16:17], -v[32:33]
	v_fma_f64 v[28:29], v[14:15], s[20:21], v[28:29]
	v_fma_f64 v[56:57], v[42:43], s[6:7], -v[56:57]
	v_fma_f64 v[121:122], v[14:15], s[0:1], v[135:136]
	v_fma_f64 v[127:128], v[42:43], s[0:1], -v[137:138]
	v_add_f64 v[105:106], v[16:17], v[18:19]
	v_add_f64 v[107:108], v[24:25], v[12:13]
	v_fma_f64 v[111:112], v[42:43], s[24:25], -v[129:130]
	v_add_f64 v[8:9], v[97:98], v[87:88]
	v_add_f64 v[10:11], v[117:118], v[89:90]
	;; [unrolled: 1-line block ×22, first 2 shown]
	v_mad_u32_u24 v48, 0xd0, v66, v74
	ds_write_b128 v48, v[4:7]
	ds_write_b128 v48, v[77:80] offset:16
	ds_write_b128 v48, v[8:11] offset:32
	;; [unrolled: 1-line block ×12, first 2 shown]
	v_lshl_add_u32 v78, v71, 4, v74
	s_waitcnt lgkmcnt(0)
	s_barrier
	buffer_gl0_inv
	v_lshl_add_u32 v77, v70, 4, v74
	ds_read_b128 v[20:23], v75
	ds_read_b128 v[52:55], v76 offset:208
	ds_read_b128 v[44:47], v76 offset:416
	;; [unrolled: 1-line block ×3, first 2 shown]
	ds_read_b128 v[24:27], v78
	ds_read_b128 v[16:19], v77
	ds_read_b128 v[48:51], v76 offset:272
	ds_read_b128 v[32:35], v76 offset:336
	;; [unrolled: 1-line block ×6, first 2 shown]
	v_cmp_ne_u32_e64 s0, 0, v66
	v_cmp_eq_u32_e64 s1, 0, v66
                                        ; implicit-def: $vgpr6_vgpr7
                                        ; implicit-def: $vgpr10_vgpr11
                                        ; implicit-def: $vgpr14_vgpr15
	s_and_saveexec_b32 s2, s1
	s_cbranch_execz .LBB0_15
; %bb.14:
	ds_read_b128 v[0:3], v74 offset:192
	ds_read_b128 v[4:7], v74 offset:400
	;; [unrolled: 1-line block ×4, first 2 shown]
.LBB0_15:
	s_or_b32 exec_lo, exec_lo, s2
	v_mul_i32_i24_e32 v72, 3, v71
	v_mov_b32_e32 v73, 0
	v_mul_u32_u24_e32 v79, 3, v66
	v_lshlrev_b64 v[80:81], 4, v[72:73]
	v_mul_i32_i24_e32 v72, 3, v70
	v_lshlrev_b32_e32 v88, 4, v79
	v_lshlrev_b64 v[96:97], 4, v[72:73]
	v_add_co_u32 v100, s2, s12, v80
	v_add_co_ci_u32_e64 v101, s2, s13, v81, s2
	s_clause 0x3
	global_load_dwordx4 v[80:83], v88, s[12:13]
	global_load_dwordx4 v[84:87], v88, s[12:13] offset:16
	global_load_dwordx4 v[88:91], v88, s[12:13] offset:32
	global_load_dwordx4 v[92:95], v[100:101], off
	v_add_co_u32 v112, s2, s12, v96
	v_add_co_ci_u32_e64 v113, s2, s13, v97, s2
	s_clause 0x4
	global_load_dwordx4 v[96:99], v[100:101], off offset:16
	global_load_dwordx4 v[100:103], v[100:101], off offset:32
	global_load_dwordx4 v[104:107], v[112:113], off
	global_load_dwordx4 v[108:111], v[112:113], off offset:16
	global_load_dwordx4 v[112:115], v[112:113], off offset:32
	s_waitcnt vmcnt(0) lgkmcnt(0)
	s_barrier
	buffer_gl0_inv
	v_mul_f64 v[116:117], v[54:55], v[82:83]
	v_mul_f64 v[82:83], v[52:53], v[82:83]
	;; [unrolled: 1-line block ×18, first 2 shown]
	v_fma_f64 v[52:53], v[52:53], v[80:81], -v[116:117]
	v_fma_f64 v[54:55], v[54:55], v[80:81], v[82:83]
	v_fma_f64 v[44:45], v[44:45], v[84:85], -v[118:119]
	v_fma_f64 v[46:47], v[46:47], v[84:85], v[86:87]
	;; [unrolled: 2-line block ×9, first 2 shown]
	v_add_f64 v[44:45], v[20:21], -v[44:45]
	v_add_f64 v[46:47], v[22:23], -v[46:47]
	;; [unrolled: 1-line block ×12, first 2 shown]
	v_fma_f64 v[58:59], v[20:21], 2.0, -v[44:45]
	v_fma_f64 v[86:87], v[22:23], 2.0, -v[46:47]
	v_fma_f64 v[22:23], v[52:53], 2.0, -v[60:61]
	v_fma_f64 v[40:41], v[54:55], 2.0, -v[62:63]
	v_fma_f64 v[54:55], v[24:25], 2.0, -v[80:81]
	v_fma_f64 v[88:89], v[26:27], 2.0, -v[82:83]
	v_fma_f64 v[42:43], v[48:49], 2.0, -v[28:29]
	v_fma_f64 v[48:49], v[50:51], 2.0, -v[30:31]
	v_add_f64 v[20:21], v[80:81], -v[30:31]
	v_fma_f64 v[90:91], v[16:17], 2.0, -v[56:57]
	v_fma_f64 v[92:93], v[18:19], 2.0, -v[84:85]
	;; [unrolled: 1-line block ×4, first 2 shown]
	v_add_f64 v[16:17], v[44:45], -v[62:63]
	v_add_f64 v[18:19], v[46:47], v[60:61]
	v_add_f64 v[30:31], v[84:85], v[36:37]
	v_add_f64 v[24:25], v[58:59], -v[22:23]
	v_add_f64 v[26:27], v[86:87], -v[40:41]
	v_add_f64 v[22:23], v[82:83], v[28:29]
	v_add_f64 v[28:29], v[56:57], -v[38:39]
	v_add_f64 v[32:33], v[54:55], -v[42:43]
	;; [unrolled: 1-line block ×5, first 2 shown]
	v_fma_f64 v[40:41], v[44:45], 2.0, -v[16:17]
	v_fma_f64 v[42:43], v[46:47], 2.0, -v[18:19]
	;; [unrolled: 1-line block ×12, first 2 shown]
	ds_write_b128 v76, v[16:19] offset:624
	ds_write_b128 v76, v[40:43] offset:208
	;; [unrolled: 1-line block ×3, first 2 shown]
	ds_write_b128 v76, v[48:51]
	ds_write_b128 v78, v[44:47] offset:208
	ds_write_b128 v78, v[32:35] offset:416
	;; [unrolled: 1-line block ×3, first 2 shown]
	ds_write_b128 v78, v[56:59]
	ds_write_b128 v77, v[52:55] offset:208
	ds_write_b128 v77, v[36:39] offset:416
	ds_write_b128 v77, v[60:63]
	ds_write_b128 v77, v[28:31] offset:624
	s_and_saveexec_b32 s2, s1
	s_cbranch_execz .LBB0_17
; %bb.16:
	v_add_nc_u32_e32 v16, -3, v79
	v_cndmask_b32_e64 v72, v16, 36, s1
	v_lshlrev_b64 v[16:17], 4, v[72:73]
	v_add_co_u32 v24, s1, s12, v16
	v_add_co_ci_u32_e64 v25, s1, s13, v17, s1
	s_clause 0x2
	global_load_dwordx4 v[16:19], v[24:25], off offset:16
	global_load_dwordx4 v[20:23], v[24:25], off
	global_load_dwordx4 v[24:27], v[24:25], off offset:32
	s_waitcnt vmcnt(2)
	v_mul_f64 v[28:29], v[8:9], v[18:19]
	s_waitcnt vmcnt(1)
	v_mul_f64 v[30:31], v[6:7], v[22:23]
	v_mul_f64 v[22:23], v[4:5], v[22:23]
	s_waitcnt vmcnt(0)
	v_mul_f64 v[32:33], v[12:13], v[26:27]
	v_mul_f64 v[18:19], v[10:11], v[18:19]
	;; [unrolled: 1-line block ×3, first 2 shown]
	v_fma_f64 v[10:11], v[10:11], v[16:17], v[28:29]
	v_fma_f64 v[4:5], v[4:5], v[20:21], -v[30:31]
	v_fma_f64 v[6:7], v[6:7], v[20:21], v[22:23]
	v_fma_f64 v[14:15], v[14:15], v[24:25], v[32:33]
	v_fma_f64 v[8:9], v[8:9], v[16:17], -v[18:19]
	v_fma_f64 v[12:13], v[12:13], v[24:25], -v[26:27]
	v_add_f64 v[10:11], v[2:3], -v[10:11]
	v_add_f64 v[14:15], v[6:7], -v[14:15]
	;; [unrolled: 1-line block ×4, first 2 shown]
	v_fma_f64 v[16:17], v[2:3], 2.0, -v[10:11]
	v_fma_f64 v[6:7], v[6:7], 2.0, -v[14:15]
	;; [unrolled: 1-line block ×4, first 2 shown]
	v_add_f64 v[2:3], v[10:11], v[12:13]
	v_add_f64 v[0:1], v[8:9], -v[14:15]
	v_add_f64 v[6:7], v[16:17], -v[6:7]
	;; [unrolled: 1-line block ×3, first 2 shown]
	v_fma_f64 v[10:11], v[10:11], 2.0, -v[2:3]
	v_fma_f64 v[8:9], v[8:9], 2.0, -v[0:1]
	v_fma_f64 v[14:15], v[16:17], 2.0, -v[6:7]
	v_fma_f64 v[12:13], v[18:19], 2.0, -v[4:5]
	ds_write_b128 v74, v[8:11] offset:400
	ds_write_b128 v74, v[4:7] offset:608
	;; [unrolled: 1-line block ×4, first 2 shown]
.LBB0_17:
	s_or_b32 exec_lo, exec_lo, s2
	s_waitcnt lgkmcnt(0)
	s_barrier
	buffer_gl0_inv
	ds_read_b128 v[4:7], v75
	v_sub_nc_u32_e32 v12, v74, v67
                                        ; implicit-def: $vgpr2_vgpr3
                                        ; implicit-def: $vgpr10_vgpr11
                                        ; implicit-def: $vgpr8_vgpr9
	s_and_saveexec_b32 s1, s0
	s_xor_b32 s1, exec_lo, s1
	s_cbranch_execz .LBB0_19
; %bb.18:
	v_mov_b32_e32 v67, 0
	v_lshlrev_b64 v[0:1], 4, v[66:67]
	v_add_co_u32 v0, s0, s12, v0
	v_add_co_ci_u32_e64 v1, s0, s13, v1, s0
	global_load_dwordx4 v[8:11], v[0:1], off offset:624
	ds_read_b128 v[0:3], v12 offset:832
	s_waitcnt lgkmcnt(0)
	v_add_f64 v[13:14], v[4:5], -v[0:1]
	v_add_f64 v[15:16], v[6:7], v[2:3]
	v_add_f64 v[2:3], v[6:7], -v[2:3]
	v_add_f64 v[0:1], v[4:5], v[0:1]
	v_mul_f64 v[6:7], v[13:14], 0.5
	v_mul_f64 v[4:5], v[15:16], 0.5
	;; [unrolled: 1-line block ×3, first 2 shown]
	s_waitcnt vmcnt(0)
	v_mul_f64 v[13:14], v[6:7], v[10:11]
	v_fma_f64 v[15:16], v[4:5], v[10:11], v[2:3]
	v_fma_f64 v[2:3], v[4:5], v[10:11], -v[2:3]
	v_fma_f64 v[17:18], v[0:1], 0.5, v[13:14]
	v_fma_f64 v[0:1], v[0:1], 0.5, -v[13:14]
	v_fma_f64 v[10:11], -v[8:9], v[6:7], v[15:16]
	v_fma_f64 v[2:3], -v[8:9], v[6:7], v[2:3]
	v_fma_f64 v[13:14], v[4:5], v[8:9], v[17:18]
	v_fma_f64 v[0:1], -v[4:5], v[8:9], v[0:1]
	v_mov_b32_e32 v8, v66
	v_mov_b32_e32 v9, v67
                                        ; implicit-def: $vgpr4_vgpr5
	ds_write_b64 v75, v[13:14]
.LBB0_19:
	s_andn2_saveexec_b32 s0, s1
	s_cbranch_execz .LBB0_21
; %bb.20:
	ds_read_b64 v[13:14], v74 offset:424
	s_waitcnt lgkmcnt(1)
	v_add_f64 v[15:16], v[4:5], v[6:7]
	v_add_f64 v[0:1], v[4:5], -v[6:7]
	v_mov_b32_e32 v10, 0
	v_mov_b32_e32 v11, 0
	;; [unrolled: 1-line block ×6, first 2 shown]
	s_waitcnt lgkmcnt(0)
	v_xor_b32_e32 v14, 0x80000000, v14
	ds_write_b64 v75, v[15:16]
	ds_write_b64 v74, v[13:14] offset:424
.LBB0_21:
	s_or_b32 exec_lo, exec_lo, s0
	v_mov_b32_e32 v72, 0
	v_lshlrev_b64 v[21:22], 4, v[8:9]
	ds_write_b64 v75, v[10:11] offset:8
	ds_write_b128 v12, v[0:3] offset:832
	s_waitcnt lgkmcnt(2)
	v_lshlrev_b64 v[4:5], 4, v[71:72]
	v_mov_b32_e32 v71, v72
	v_lshlrev_b64 v[13:14], 4, v[70:71]
	v_add_co_u32 v4, s0, s12, v4
	v_add_co_ci_u32_e64 v5, s0, s13, v5, s0
	v_add_co_u32 v13, s0, s12, v13
	global_load_dwordx4 v[4:7], v[4:5], off offset:624
	v_add_co_ci_u32_e64 v14, s0, s13, v14, s0
	s_add_u32 s0, s12, 0x270
	s_addc_u32 s1, s13, 0
	v_add_co_u32 v0, s0, s0, v21
	global_load_dwordx4 v[13:16], v[13:14], off offset:624
	ds_read_b128 v[8:11], v78
	ds_read_b128 v[17:20], v12 offset:768
	v_add_co_ci_u32_e64 v1, s0, s1, v22, s0
	s_mov_b32 s1, exec_lo
	s_clause 0x1
	global_load_dwordx4 v[21:24], v[0:1], off offset:192
	global_load_dwordx4 v[25:28], v[0:1], off offset:320
	s_waitcnt lgkmcnt(0)
	v_add_f64 v[2:3], v[8:9], -v[17:18]
	v_add_f64 v[29:30], v[10:11], v[19:20]
	v_add_f64 v[10:11], v[10:11], -v[19:20]
	v_add_f64 v[8:9], v[8:9], v[17:18]
	v_mul_f64 v[2:3], v[2:3], 0.5
	v_mul_f64 v[29:30], v[29:30], 0.5
	;; [unrolled: 1-line block ×3, first 2 shown]
	s_waitcnt vmcnt(3)
	v_mul_f64 v[17:18], v[2:3], v[6:7]
	v_fma_f64 v[19:20], v[29:30], v[6:7], v[10:11]
	v_fma_f64 v[6:7], v[29:30], v[6:7], -v[10:11]
	v_fma_f64 v[10:11], v[8:9], 0.5, v[17:18]
	v_fma_f64 v[17:18], v[8:9], 0.5, -v[17:18]
	v_fma_f64 v[8:9], -v[4:5], v[2:3], v[19:20]
	v_fma_f64 v[19:20], -v[4:5], v[2:3], v[6:7]
	v_fma_f64 v[6:7], v[29:30], v[4:5], v[10:11]
	v_fma_f64 v[17:18], -v[29:30], v[4:5], v[17:18]
	ds_write_b128 v78, v[6:9]
	ds_write_b128 v12, v[17:20] offset:768
	ds_read_b128 v[2:5], v77
	ds_read_b128 v[6:9], v12 offset:704
	global_load_dwordx4 v[17:20], v[0:1], off offset:256
	s_waitcnt lgkmcnt(0)
	v_add_f64 v[10:11], v[2:3], -v[6:7]
	v_add_f64 v[29:30], v[4:5], v[8:9]
	v_add_f64 v[4:5], v[4:5], -v[8:9]
	v_add_f64 v[2:3], v[2:3], v[6:7]
	v_mul_f64 v[8:9], v[10:11], 0.5
	v_mul_f64 v[10:11], v[29:30], 0.5
	;; [unrolled: 1-line block ×3, first 2 shown]
	s_waitcnt vmcnt(3)
	v_mul_f64 v[6:7], v[8:9], v[15:16]
	v_fma_f64 v[29:30], v[10:11], v[15:16], v[4:5]
	v_fma_f64 v[15:16], v[10:11], v[15:16], -v[4:5]
	v_fma_f64 v[31:32], v[2:3], 0.5, v[6:7]
	v_fma_f64 v[6:7], v[2:3], 0.5, -v[6:7]
	v_fma_f64 v[4:5], -v[13:14], v[8:9], v[29:30]
	v_fma_f64 v[8:9], -v[13:14], v[8:9], v[15:16]
	v_fma_f64 v[2:3], v[10:11], v[13:14], v[31:32]
	v_fma_f64 v[6:7], -v[10:11], v[13:14], v[6:7]
	ds_write_b128 v77, v[2:5]
	ds_write_b128 v12, v[6:9] offset:704
	ds_read_b128 v[2:5], v75 offset:192
	ds_read_b128 v[6:9], v12 offset:640
	s_waitcnt lgkmcnt(0)
	v_add_f64 v[10:11], v[2:3], -v[6:7]
	v_add_f64 v[13:14], v[4:5], v[8:9]
	v_add_f64 v[4:5], v[4:5], -v[8:9]
	v_add_f64 v[2:3], v[2:3], v[6:7]
	v_mul_f64 v[8:9], v[10:11], 0.5
	v_mul_f64 v[10:11], v[13:14], 0.5
	;; [unrolled: 1-line block ×3, first 2 shown]
	s_waitcnt vmcnt(2)
	v_mul_f64 v[6:7], v[8:9], v[23:24]
	v_fma_f64 v[13:14], v[10:11], v[23:24], v[4:5]
	v_fma_f64 v[15:16], v[10:11], v[23:24], -v[4:5]
	v_fma_f64 v[23:24], v[2:3], 0.5, v[6:7]
	v_fma_f64 v[6:7], v[2:3], 0.5, -v[6:7]
	v_fma_f64 v[4:5], -v[21:22], v[8:9], v[13:14]
	v_fma_f64 v[8:9], -v[21:22], v[8:9], v[15:16]
	v_fma_f64 v[2:3], v[10:11], v[21:22], v[23:24]
	v_fma_f64 v[6:7], -v[10:11], v[21:22], v[6:7]
	ds_write_b128 v75, v[2:5] offset:192
	ds_write_b128 v12, v[6:9] offset:640
	ds_read_b128 v[2:5], v75 offset:256
	ds_read_b128 v[6:9], v12 offset:576
	s_waitcnt lgkmcnt(0)
	v_add_f64 v[10:11], v[2:3], -v[6:7]
	v_add_f64 v[13:14], v[4:5], v[8:9]
	v_add_f64 v[4:5], v[4:5], -v[8:9]
	v_add_f64 v[2:3], v[2:3], v[6:7]
	v_mul_f64 v[8:9], v[10:11], 0.5
	v_mul_f64 v[10:11], v[13:14], 0.5
	;; [unrolled: 1-line block ×3, first 2 shown]
	s_waitcnt vmcnt(0)
	v_mul_f64 v[6:7], v[8:9], v[19:20]
	v_fma_f64 v[13:14], v[10:11], v[19:20], v[4:5]
	v_fma_f64 v[15:16], v[10:11], v[19:20], -v[4:5]
	v_fma_f64 v[19:20], v[2:3], 0.5, v[6:7]
	v_fma_f64 v[6:7], v[2:3], 0.5, -v[6:7]
	v_fma_f64 v[4:5], -v[17:18], v[8:9], v[13:14]
	v_fma_f64 v[8:9], -v[17:18], v[8:9], v[15:16]
	v_fma_f64 v[2:3], v[10:11], v[17:18], v[19:20]
	v_fma_f64 v[6:7], -v[10:11], v[17:18], v[6:7]
	ds_write_b128 v75, v[2:5] offset:256
	ds_write_b128 v12, v[6:9] offset:576
	ds_read_b128 v[2:5], v75 offset:320
	ds_read_b128 v[6:9], v12 offset:512
	s_waitcnt lgkmcnt(0)
	v_add_f64 v[10:11], v[2:3], -v[6:7]
	v_add_f64 v[13:14], v[4:5], v[8:9]
	v_add_f64 v[4:5], v[4:5], -v[8:9]
	v_add_f64 v[2:3], v[2:3], v[6:7]
	v_mul_f64 v[8:9], v[10:11], 0.5
	v_mul_f64 v[10:11], v[13:14], 0.5
	;; [unrolled: 1-line block ×3, first 2 shown]
	v_mul_f64 v[6:7], v[8:9], v[27:28]
	v_fma_f64 v[13:14], v[10:11], v[27:28], v[4:5]
	v_fma_f64 v[15:16], v[10:11], v[27:28], -v[4:5]
	v_fma_f64 v[17:18], v[2:3], 0.5, v[6:7]
	v_fma_f64 v[6:7], v[2:3], 0.5, -v[6:7]
	v_fma_f64 v[4:5], -v[25:26], v[8:9], v[13:14]
	v_fma_f64 v[8:9], -v[25:26], v[8:9], v[15:16]
	v_fma_f64 v[2:3], v[10:11], v[25:26], v[17:18]
	v_fma_f64 v[6:7], -v[10:11], v[25:26], v[6:7]
	v_or_b32_e32 v10, 24, v66
	ds_write_b128 v75, v[2:5] offset:320
	ds_write_b128 v12, v[6:9] offset:512
	v_cmpx_gt_u32_e32 26, v10
	s_cbranch_execz .LBB0_23
; %bb.22:
	global_load_dwordx4 v[0:3], v[0:1], off offset:384
	ds_read_b128 v[4:7], v75 offset:384
	ds_read_b128 v[8:11], v12 offset:448
	s_waitcnt lgkmcnt(0)
	v_add_f64 v[13:14], v[4:5], -v[8:9]
	v_add_f64 v[15:16], v[6:7], v[10:11]
	v_add_f64 v[6:7], v[6:7], -v[10:11]
	v_add_f64 v[4:5], v[4:5], v[8:9]
	v_mul_f64 v[10:11], v[13:14], 0.5
	v_mul_f64 v[13:14], v[15:16], 0.5
	;; [unrolled: 1-line block ×3, first 2 shown]
	s_waitcnt vmcnt(0)
	v_mul_f64 v[8:9], v[10:11], v[2:3]
	v_fma_f64 v[15:16], v[13:14], v[2:3], v[6:7]
	v_fma_f64 v[2:3], v[13:14], v[2:3], -v[6:7]
	v_fma_f64 v[6:7], v[4:5], 0.5, v[8:9]
	v_fma_f64 v[17:18], v[4:5], 0.5, -v[8:9]
	v_fma_f64 v[4:5], -v[0:1], v[10:11], v[15:16]
	v_fma_f64 v[8:9], -v[0:1], v[10:11], v[2:3]
	v_fma_f64 v[2:3], v[13:14], v[0:1], v[6:7]
	v_fma_f64 v[6:7], -v[13:14], v[0:1], v[17:18]
	ds_write_b128 v75, v[2:5] offset:384
	ds_write_b128 v12, v[6:9] offset:448
.LBB0_23:
	s_or_b32 exec_lo, exec_lo, s1
	s_waitcnt lgkmcnt(0)
	s_barrier
	buffer_gl0_inv
	s_and_saveexec_b32 s0, vcc_lo
	s_cbranch_execz .LBB0_26
; %bb.24:
	v_mul_lo_u32 v3, s5, v68
	v_mul_lo_u32 v4, s4, v69
	v_mad_u64_u32 v[0:1], null, s4, v68, 0
	v_lshl_add_u32 v2, v66, 4, v74
	v_mov_b32_e32 v67, 0
	v_lshlrev_b64 v[11:12], 4, v[64:65]
	v_add_nc_u32_e32 v13, 4, v66
	v_add_nc_u32_e32 v19, 8, v66
	;; [unrolled: 1-line block ×3, first 2 shown]
	v_add3_u32 v1, v1, v4, v3
	ds_read_b128 v[3:6], v2
	ds_read_b128 v[7:10], v2 offset:64
	v_lshlrev_b64 v[15:16], 4, v[66:67]
	v_mov_b32_e32 v14, v67
	v_mov_b32_e32 v20, v67
	v_lshlrev_b64 v[0:1], 4, v[0:1]
	v_mov_b32_e32 v22, v67
	v_add_nc_u32_e32 v27, 16, v66
	v_lshlrev_b64 v[25:26], 4, v[13:14]
	v_lshlrev_b64 v[19:20], 4, v[19:20]
	v_mov_b32_e32 v28, v67
	v_add_co_u32 v0, vcc_lo, s10, v0
	v_add_co_ci_u32_e32 v1, vcc_lo, s11, v1, vcc_lo
	v_lshlrev_b64 v[21:22], 4, v[21:22]
	v_add_co_u32 v0, vcc_lo, v0, v11
	v_add_co_ci_u32_e32 v1, vcc_lo, v1, v12, vcc_lo
	v_add_nc_u32_e32 v31, 20, v66
	v_add_co_u32 v23, vcc_lo, v0, v15
	v_add_co_ci_u32_e32 v24, vcc_lo, v1, v16, vcc_lo
	ds_read_b128 v[11:14], v2 offset:128
	ds_read_b128 v[15:18], v2 offset:192
	v_mov_b32_e32 v32, v67
	v_lshlrev_b64 v[27:28], 4, v[27:28]
	s_waitcnt lgkmcnt(3)
	global_store_dwordx4 v[23:24], v[3:6], off
	v_add_co_u32 v23, vcc_lo, v0, v25
	v_add_co_ci_u32_e32 v24, vcc_lo, v1, v26, vcc_lo
	v_add_co_u32 v25, vcc_lo, v0, v19
	v_add_co_ci_u32_e32 v26, vcc_lo, v1, v20, vcc_lo
	v_add_co_u32 v29, vcc_lo, v0, v21
	ds_read_b128 v[3:6], v2 offset:256
	v_add_co_ci_u32_e32 v30, vcc_lo, v1, v22, vcc_lo
	ds_read_b128 v[19:22], v2 offset:320
	s_waitcnt lgkmcnt(4)
	global_store_dwordx4 v[23:24], v[7:10], off
	s_waitcnt lgkmcnt(3)
	global_store_dwordx4 v[25:26], v[11:14], off
	;; [unrolled: 2-line block ×3, first 2 shown]
	v_lshlrev_b64 v[7:8], 4, v[31:32]
	v_add_co_u32 v9, vcc_lo, v0, v27
	v_add_co_ci_u32_e32 v10, vcc_lo, v1, v28, vcc_lo
	v_add_nc_u32_e32 v11, 24, v66
	v_add_co_u32 v7, vcc_lo, v0, v7
	v_add_co_ci_u32_e32 v8, vcc_lo, v1, v8, vcc_lo
	v_mov_b32_e32 v12, v67
	v_add_nc_u32_e32 v13, 28, v66
	v_mov_b32_e32 v14, v67
	s_waitcnt lgkmcnt(1)
	global_store_dwordx4 v[9:10], v[3:6], off
	v_add_nc_u32_e32 v25, 48, v66
	v_lshlrev_b64 v[15:16], 4, v[11:12]
	s_waitcnt lgkmcnt(0)
	global_store_dwordx4 v[7:8], v[19:22], off
	ds_read_b128 v[3:6], v2 offset:384
	ds_read_b128 v[7:10], v2 offset:448
	v_lshlrev_b64 v[17:18], 4, v[13:14]
	ds_read_b128 v[11:14], v2 offset:512
	v_add_nc_u32_e32 v19, 32, v66
	v_mov_b32_e32 v20, v67
	v_add_co_u32 v15, vcc_lo, v0, v15
	v_add_co_ci_u32_e32 v16, vcc_lo, v1, v16, vcc_lo
	v_lshlrev_b64 v[19:20], 4, v[19:20]
	v_add_co_u32 v17, vcc_lo, v0, v17
	v_add_nc_u32_e32 v21, 36, v66
	v_mov_b32_e32 v22, v67
	v_add_co_ci_u32_e32 v18, vcc_lo, v1, v18, vcc_lo
	v_add_co_u32 v19, vcc_lo, v0, v19
	s_waitcnt lgkmcnt(2)
	global_store_dwordx4 v[15:16], v[3:6], off
	s_waitcnt lgkmcnt(1)
	global_store_dwordx4 v[17:18], v[7:10], off
	v_lshlrev_b64 v[7:8], 4, v[21:22]
	v_add_co_ci_u32_e32 v20, vcc_lo, v1, v20, vcc_lo
	v_add_nc_u32_e32 v9, 40, v66
	v_mov_b32_e32 v10, v67
	v_add_nc_u32_e32 v15, 44, v66
	s_waitcnt lgkmcnt(0)
	global_store_dwordx4 v[19:20], v[11:14], off
	v_mov_b32_e32 v16, v67
	v_add_co_u32 v19, vcc_lo, v0, v7
	ds_read_b128 v[3:6], v2 offset:576
	v_add_co_ci_u32_e32 v20, vcc_lo, v1, v8, vcc_lo
	v_lshlrev_b64 v[21:22], 4, v[9:10]
	ds_read_b128 v[7:10], v2 offset:640
	ds_read_b128 v[11:14], v2 offset:704
	v_mov_b32_e32 v26, v67
	v_lshlrev_b64 v[23:24], 4, v[15:16]
	ds_read_b128 v[15:18], v2 offset:768
	v_add_co_u32 v21, vcc_lo, v0, v21
	v_lshlrev_b64 v[25:26], 4, v[25:26]
	v_add_co_ci_u32_e32 v22, vcc_lo, v1, v22, vcc_lo
	v_add_co_u32 v23, vcc_lo, v0, v23
	v_add_co_ci_u32_e32 v24, vcc_lo, v1, v24, vcc_lo
	v_add_co_u32 v25, vcc_lo, v0, v25
	v_add_co_ci_u32_e32 v26, vcc_lo, v1, v26, vcc_lo
	v_cmp_eq_u32_e32 vcc_lo, 3, v66
	s_waitcnt lgkmcnt(3)
	global_store_dwordx4 v[19:20], v[3:6], off
	s_waitcnt lgkmcnt(2)
	global_store_dwordx4 v[21:22], v[7:10], off
	;; [unrolled: 2-line block ×4, first 2 shown]
	s_and_b32 exec_lo, exec_lo, vcc_lo
	s_cbranch_execz .LBB0_26
; %bb.25:
	ds_read_b128 v[2:5], v2 offset:784
	s_waitcnt lgkmcnt(0)
	global_store_dwordx4 v[0:1], v[2:5], off offset:832
.LBB0_26:
	s_endpgm
	.section	.rodata,"a",@progbits
	.p2align	6, 0x0
	.amdhsa_kernel fft_rtc_fwd_len52_factors_13_4_wgs_64_tpt_4_halfLds_dp_op_CI_CI_unitstride_sbrr_R2C_dirReg
		.amdhsa_group_segment_fixed_size 0
		.amdhsa_private_segment_fixed_size 0
		.amdhsa_kernarg_size 104
		.amdhsa_user_sgpr_count 6
		.amdhsa_user_sgpr_private_segment_buffer 1
		.amdhsa_user_sgpr_dispatch_ptr 0
		.amdhsa_user_sgpr_queue_ptr 0
		.amdhsa_user_sgpr_kernarg_segment_ptr 1
		.amdhsa_user_sgpr_dispatch_id 0
		.amdhsa_user_sgpr_flat_scratch_init 0
		.amdhsa_user_sgpr_private_segment_size 0
		.amdhsa_wavefront_size32 1
		.amdhsa_uses_dynamic_stack 0
		.amdhsa_system_sgpr_private_segment_wavefront_offset 0
		.amdhsa_system_sgpr_workgroup_id_x 1
		.amdhsa_system_sgpr_workgroup_id_y 0
		.amdhsa_system_sgpr_workgroup_id_z 0
		.amdhsa_system_sgpr_workgroup_info 0
		.amdhsa_system_vgpr_workitem_id 0
		.amdhsa_next_free_vgpr 145
		.amdhsa_next_free_sgpr 36
		.amdhsa_reserve_vcc 1
		.amdhsa_reserve_flat_scratch 0
		.amdhsa_float_round_mode_32 0
		.amdhsa_float_round_mode_16_64 0
		.amdhsa_float_denorm_mode_32 3
		.amdhsa_float_denorm_mode_16_64 3
		.amdhsa_dx10_clamp 1
		.amdhsa_ieee_mode 1
		.amdhsa_fp16_overflow 0
		.amdhsa_workgroup_processor_mode 1
		.amdhsa_memory_ordered 1
		.amdhsa_forward_progress 0
		.amdhsa_shared_vgpr_count 0
		.amdhsa_exception_fp_ieee_invalid_op 0
		.amdhsa_exception_fp_denorm_src 0
		.amdhsa_exception_fp_ieee_div_zero 0
		.amdhsa_exception_fp_ieee_overflow 0
		.amdhsa_exception_fp_ieee_underflow 0
		.amdhsa_exception_fp_ieee_inexact 0
		.amdhsa_exception_int_div_zero 0
	.end_amdhsa_kernel
	.text
.Lfunc_end0:
	.size	fft_rtc_fwd_len52_factors_13_4_wgs_64_tpt_4_halfLds_dp_op_CI_CI_unitstride_sbrr_R2C_dirReg, .Lfunc_end0-fft_rtc_fwd_len52_factors_13_4_wgs_64_tpt_4_halfLds_dp_op_CI_CI_unitstride_sbrr_R2C_dirReg
                                        ; -- End function
	.section	.AMDGPU.csdata,"",@progbits
; Kernel info:
; codeLenInByte = 9140
; NumSgprs: 38
; NumVgprs: 145
; ScratchSize: 0
; MemoryBound: 0
; FloatMode: 240
; IeeeMode: 1
; LDSByteSize: 0 bytes/workgroup (compile time only)
; SGPRBlocks: 4
; VGPRBlocks: 18
; NumSGPRsForWavesPerEU: 38
; NumVGPRsForWavesPerEU: 145
; Occupancy: 6
; WaveLimiterHint : 1
; COMPUTE_PGM_RSRC2:SCRATCH_EN: 0
; COMPUTE_PGM_RSRC2:USER_SGPR: 6
; COMPUTE_PGM_RSRC2:TRAP_HANDLER: 0
; COMPUTE_PGM_RSRC2:TGID_X_EN: 1
; COMPUTE_PGM_RSRC2:TGID_Y_EN: 0
; COMPUTE_PGM_RSRC2:TGID_Z_EN: 0
; COMPUTE_PGM_RSRC2:TIDIG_COMP_CNT: 0
	.text
	.p2alignl 6, 3214868480
	.fill 48, 4, 3214868480
	.type	__hip_cuid_331389a01e0703ed,@object ; @__hip_cuid_331389a01e0703ed
	.section	.bss,"aw",@nobits
	.globl	__hip_cuid_331389a01e0703ed
__hip_cuid_331389a01e0703ed:
	.byte	0                               ; 0x0
	.size	__hip_cuid_331389a01e0703ed, 1

	.ident	"AMD clang version 19.0.0git (https://github.com/RadeonOpenCompute/llvm-project roc-6.4.0 25133 c7fe45cf4b819c5991fe208aaa96edf142730f1d)"
	.section	".note.GNU-stack","",@progbits
	.addrsig
	.addrsig_sym __hip_cuid_331389a01e0703ed
	.amdgpu_metadata
---
amdhsa.kernels:
  - .args:
      - .actual_access:  read_only
        .address_space:  global
        .offset:         0
        .size:           8
        .value_kind:     global_buffer
      - .offset:         8
        .size:           8
        .value_kind:     by_value
      - .actual_access:  read_only
        .address_space:  global
        .offset:         16
        .size:           8
        .value_kind:     global_buffer
      - .actual_access:  read_only
        .address_space:  global
        .offset:         24
        .size:           8
        .value_kind:     global_buffer
      - .actual_access:  read_only
        .address_space:  global
        .offset:         32
        .size:           8
        .value_kind:     global_buffer
      - .offset:         40
        .size:           8
        .value_kind:     by_value
      - .actual_access:  read_only
        .address_space:  global
        .offset:         48
        .size:           8
        .value_kind:     global_buffer
      - .actual_access:  read_only
        .address_space:  global
        .offset:         56
        .size:           8
        .value_kind:     global_buffer
      - .offset:         64
        .size:           4
        .value_kind:     by_value
      - .actual_access:  read_only
        .address_space:  global
        .offset:         72
        .size:           8
        .value_kind:     global_buffer
      - .actual_access:  read_only
        .address_space:  global
        .offset:         80
        .size:           8
        .value_kind:     global_buffer
      - .actual_access:  read_only
        .address_space:  global
        .offset:         88
        .size:           8
        .value_kind:     global_buffer
      - .actual_access:  write_only
        .address_space:  global
        .offset:         96
        .size:           8
        .value_kind:     global_buffer
    .group_segment_fixed_size: 0
    .kernarg_segment_align: 8
    .kernarg_segment_size: 104
    .language:       OpenCL C
    .language_version:
      - 2
      - 0
    .max_flat_workgroup_size: 64
    .name:           fft_rtc_fwd_len52_factors_13_4_wgs_64_tpt_4_halfLds_dp_op_CI_CI_unitstride_sbrr_R2C_dirReg
    .private_segment_fixed_size: 0
    .sgpr_count:     38
    .sgpr_spill_count: 0
    .symbol:         fft_rtc_fwd_len52_factors_13_4_wgs_64_tpt_4_halfLds_dp_op_CI_CI_unitstride_sbrr_R2C_dirReg.kd
    .uniform_work_group_size: 1
    .uses_dynamic_stack: false
    .vgpr_count:     145
    .vgpr_spill_count: 0
    .wavefront_size: 32
    .workgroup_processor_mode: 1
amdhsa.target:   amdgcn-amd-amdhsa--gfx1030
amdhsa.version:
  - 1
  - 2
...

	.end_amdgpu_metadata
